;; amdgpu-corpus repo=zjin-lcf/HeCBench kind=compiled arch=gfx1250 opt=O3
	.amdgcn_target "amdgcn-amd-amdhsa--gfx1250"
	.amdhsa_code_object_version 6
	.section	.text._Z7sosfiltIfEviiiiPKT_S2_PS0_,"axG",@progbits,_Z7sosfiltIfEviiiiPKT_S2_PS0_,comdat
	.protected	_Z7sosfiltIfEviiiiPKT_S2_PS0_ ; -- Begin function _Z7sosfiltIfEviiiiPKT_S2_PS0_
	.globl	_Z7sosfiltIfEviiiiPKT_S2_PS0_
	.p2align	8
	.type	_Z7sosfiltIfEviiiiPKT_S2_PS0_,@function
_Z7sosfiltIfEviiiiPKT_S2_PS0_:          ; @_Z7sosfiltIfEviiiiPKT_S2_PS0_
; %bb.0:
	s_clause 0x1
	s_load_b128 s[4:7], s[0:1], 0x0
	s_load_b64 s[2:3], s[0:1], 0x10
	s_bfe_u32 s8, ttmp6, 0x4000c
	s_and_b32 s9, ttmp6, 15
	s_add_co_i32 s8, s8, 1
	s_getreg_b32 s10, hwreg(HW_REG_IB_STS2, 6, 4)
	s_mul_i32 s8, ttmp9, s8
	v_lshl_add_u32 v6, v0, 2, 0
	s_add_co_i32 s9, s9, s8
	v_mov_b32_e32 v2, 0
	s_mov_b32 s8, 0
	ds_store_b32 v6, v2
	s_wait_kmcnt 0x0
	v_mul_lo_u32 v1, s7, v0
	s_lshl_b32 s11, s6, 2
	s_delay_alu instid0(SALU_CYCLE_1)
	s_add_co_i32 s13, s11, 0
	s_cmp_eq_u32 s10, 0
	s_cselect_b32 s12, ttmp9, s9
	s_cmp_lt_i32 s7, 1
	s_cbranch_scc1 .LBB0_8
; %bb.1:
	v_mad_u32 v2, s6, s12, v0
	s_load_b64 s[10:11], s[0:1], 0x18
	s_cmp_eq_u32 s7, 1
	s_mov_b32 s9, -1
	s_delay_alu instid0(VALU_DEP_1)
	v_mul_lo_u32 v2, v2, s7
	s_cbranch_scc1 .LBB0_5
; %bb.2:
	v_lshl_add_u32 v3, v1, 2, s13
	s_delay_alu instid0(VALU_DEP_2) | instskip(SKIP_1) | instid1(SALU_CYCLE_1)
	v_mov_b32_e32 v4, v2
	s_and_b32 s8, s7, 0x7ffffffe
	s_mov_b32 s9, s8
.LBB0_3:                                ; =>This Inner Loop Header: Depth=1
	s_delay_alu instid0(VALU_DEP_1) | instskip(SKIP_1) | instid1(SALU_CYCLE_1)
	v_ashrrev_i32_e32 v5, 31, v4
	s_add_co_i32 s9, s9, -2
	s_cmp_lg_u32 s9, 0
	s_wait_kmcnt 0x0
	s_delay_alu instid0(VALU_DEP_1)
	v_lshl_add_u64 v[8:9], v[4:5], 2, s[10:11]
	v_add_nc_u32_e32 v4, 2, v4
	global_load_b64 v[8:9], v[8:9], off
	s_wait_loadcnt 0x0
	ds_store_2addr_b32 v3, v8, v9 offset1:1
	v_add_nc_u32_e32 v3, 8, v3
	s_cbranch_scc1 .LBB0_3
; %bb.4:
	s_cmp_lg_u32 s7, s8
	s_cselect_b32 s9, -1, 0
.LBB0_5:
	s_delay_alu instid0(SALU_CYCLE_1)
	s_and_b32 vcc_lo, exec_lo, s9
	s_cbranch_vccz .LBB0_8
; %bb.6:
	s_delay_alu instid0(VALU_DEP_1)
	v_dual_ashrrev_i32 v3, 31, v2 :: v_dual_lshlrev_b32 v4, 2, v1
	s_mov_b32 s9, 0
	s_delay_alu instid0(VALU_DEP_1) | instid1(SALU_CYCLE_1)
	v_add_nc_u64_e32 v[2:3], s[8:9], v[2:3]
	s_lshl_b32 s9, s8, 2
	s_sub_co_i32 s8, s7, s8
	v_add3_u32 v4, s13, s9, v4
	s_wait_kmcnt 0x0
	s_delay_alu instid0(VALU_DEP_2)
	v_lshl_add_u64 v[2:3], v[2:3], 2, s[10:11]
.LBB0_7:                                ; =>This Inner Loop Header: Depth=1
	global_load_b32 v5, v[2:3], off
	s_wait_xcnt 0x0
	v_add_nc_u64_e32 v[2:3], 4, v[2:3]
	s_add_co_i32 s8, s8, -1
	s_delay_alu instid0(SALU_CYCLE_1)
	s_cmp_eq_u32 s8, 0
	s_wait_loadcnt 0x0
	ds_store_b32 v4, v5
	v_add_nc_u32_e32 v4, 4, v4
	s_cbranch_scc0 .LBB0_7
.LBB0_8:
	v_mul_u32_u24_e32 v2, 6, v0
	s_delay_alu instid0(VALU_DEP_1)
	v_lshlrev_b32_e32 v7, 2, v2
	s_clause 0x1
	global_load_b128 v[2:5], v7, s[2:3]
	global_load_b64 v[8:9], v7, s[2:3] offset:16
	s_wait_xcnt 0x0
	s_mul_i32 s2, s7, s6
	s_delay_alu instid0(SALU_CYCLE_1) | instskip(NEXT) | instid1(SALU_CYCLE_1)
	s_lshl_b32 s2, s2, 2
	s_add_co_i32 s7, s13, s2
	s_cmp_lt_i32 s12, s4
	v_add_nc_u32_e32 v7, s7, v7
	s_wait_loadcnt 0x1
	ds_store_2addr_b32 v7, v2, v3 offset1:1
	ds_store_2addr_b32 v7, v4, v5 offset0:2 offset1:3
	s_wait_loadcnt 0x0
	ds_store_2addr_b32 v7, v8, v9 offset0:4 offset1:5
	s_wait_dscnt 0x0
	s_barrier_signal -1
	s_barrier_wait -1
	s_cbranch_scc0 .LBB0_27
; %bb.9:
	s_load_b64 s[2:3], s[0:1], 0x20
	v_add_nc_u32_e32 v2, -4, v6
	v_mul_u32_u24_e32 v4, 24, v0
	v_lshl_add_u32 v3, v1, 2, s13
	s_add_co_i32 s4, s6, -1
	s_cmp_lt_i32 s6, 2
	s_cbranch_scc1 .LBB0_12
; %bb.10:
	s_wait_xcnt 0x0
	s_mov_b64 s[0:1], src_shared_base
	s_mul_i32 s0, s5, s12
	v_dual_mov_b32 v1, s1 :: v_dual_add_nc_u32 v5, s7, v4
	s_mov_b32 s8, s4
	v_cmp_eq_u32_e32 vcc_lo, 0, v0
.LBB0_11:                               ; =>This Inner Loop Header: Depth=1
	s_ashr_i32 s1, s0, 31
	s_add_co_i32 s8, s8, -1
	s_wait_kmcnt 0x0
	s_lshl_b64 s[10:11], s[0:1], 2
	s_add_co_i32 s0, s0, 1
	s_add_nc_u64 s[10:11], s[2:3], s[10:11]
	s_cmp_eq_u32 s8, 0
	v_cndmask_b32_e64 v9, v1, s11, vcc_lo
	v_cndmask_b32_e64 v8, v2, s10, vcc_lo
	flat_load_b32 v7, v[8:9]
	s_wait_xcnt 0x0
	ds_load_2addr_b32 v[8:9], v3 offset1:1
	ds_load_2addr_b32 v[10:11], v5 offset1:1
	ds_load_b32 v12, v5 offset:16
	s_wait_loadcnt_dscnt 0x1
	v_fma_f32 v8, v7, v10, v8
	s_wait_dscnt 0x0
	s_delay_alu instid0(VALU_DEP_1) | instskip(NEXT) | instid1(VALU_DEP_1)
	v_mul_f32_e32 v10, v8, v12
	v_fma_f32 v10, v7, v11, -v10
	s_delay_alu instid0(VALU_DEP_1)
	v_add_f32_e32 v9, v9, v10
	ds_store_b32 v3, v9
	ds_load_b32 v9, v5 offset:20
	ds_load_b32 v10, v5 offset:8
	s_wait_dscnt 0x1
	v_mul_f32_e32 v9, v8, v9
	s_wait_dscnt 0x0
	s_delay_alu instid0(VALU_DEP_1)
	v_fma_f32 v7, v7, v10, -v9
	ds_store_b32 v3, v7 offset:4
	ds_store_b32 v6, v8
	s_wait_dscnt 0x0
	s_barrier_signal -1
	s_barrier_wait -1
	s_cbranch_scc0 .LBB0_11
.LBB0_12:
	s_cmp_gt_i32 s6, s5
	v_cmp_le_i32_e32 vcc_lo, s4, v0
	s_cbranch_scc1 .LBB0_19
; %bb.13:
	s_wait_xcnt 0x0
	s_mov_b64 s[0:1], src_shared_base
	v_cmp_eq_u32_e64 s0, 0, v0
	v_dual_mov_b32 v1, s1 :: v_dual_add_nc_u32 v5, s7, v4
	s_mul_i32 s1, s5, s12
	s_mov_b32 s8, 0
	s_add_co_i32 s9, s1, s4
	s_branch .LBB0_15
.LBB0_14:                               ;   in Loop: Header=BB0_15 Depth=1
	s_or_b32 exec_lo, exec_lo, s10
	s_add_co_i32 s8, s8, 1
	s_wait_storecnt_dscnt 0x0
	s_add_co_i32 s10, s4, s8
	s_barrier_signal -1
	s_cmp_ge_i32 s10, s5
	s_barrier_wait -1
	s_cbranch_scc1 .LBB0_19
.LBB0_15:                               ; =>This Inner Loop Header: Depth=1
	s_wait_kmcnt 0x0
	s_add_co_i32 s10, s9, s8
	s_delay_alu instid0(SALU_CYCLE_1) | instskip(NEXT) | instid1(SALU_CYCLE_1)
	s_ashr_i32 s11, s10, 31
	s_lshl_b64 s[10:11], s[10:11], 2
	s_delay_alu instid0(SALU_CYCLE_1) | instskip(NEXT) | instid1(SALU_CYCLE_1)
	s_add_nc_u64 s[10:11], s[2:3], s[10:11]
	v_cndmask_b32_e64 v9, v1, s11, s0
	v_cndmask_b32_e64 v8, v2, s10, s0
	flat_load_b32 v12, v[8:9]
	s_wait_xcnt 0x0
	ds_load_2addr_b32 v[8:9], v3 offset1:1
	ds_load_2addr_b32 v[10:11], v5 offset1:1
	ds_load_b32 v13, v5 offset:16
	s_wait_loadcnt_dscnt 0x1
	v_fma_f32 v7, v12, v10, v8
	s_wait_dscnt 0x0
	s_delay_alu instid0(VALU_DEP_1) | instskip(NEXT) | instid1(VALU_DEP_1)
	v_mul_f32_e32 v8, v7, v13
	v_fma_f32 v8, v12, v11, -v8
	s_delay_alu instid0(VALU_DEP_1)
	v_add_f32_e32 v8, v9, v8
	ds_store_b32 v3, v8
	ds_load_b32 v8, v5 offset:20
	ds_load_b32 v9, v5 offset:8
	s_wait_dscnt 0x1
	v_mul_f32_e32 v8, v7, v8
	s_wait_dscnt 0x0
	s_delay_alu instid0(VALU_DEP_1) | instskip(SKIP_2) | instid1(SALU_CYCLE_1)
	v_fma_f32 v8, v12, v9, -v8
	ds_store_b32 v3, v8 offset:4
	s_and_saveexec_b32 s10, vcc_lo
	s_xor_b32 s10, exec_lo, s10
	s_cbranch_execz .LBB0_17
; %bb.16:                               ;   in Loop: Header=BB0_15 Depth=1
	s_add_co_i32 s11, s1, s8
	s_delay_alu instid0(SALU_CYCLE_1)
	v_mov_b32_e32 v8, s11
	global_store_b32 v8, v7, s[2:3] scale_offset
                                        ; implicit-def: $vgpr7
.LBB0_17:                               ;   in Loop: Header=BB0_15 Depth=1
	s_wait_xcnt 0x0
	s_and_not1_saveexec_b32 s10, s10
	s_cbranch_execz .LBB0_14
; %bb.18:                               ;   in Loop: Header=BB0_15 Depth=1
	ds_store_b32 v6, v7
	s_branch .LBB0_14
.LBB0_19:
	s_cmp_lt_i32 s6, 1
	s_cbranch_scc1 .LBB0_27
; %bb.20:
	s_add_co_i32 s12, s12, 1
	v_add_nc_u32_e32 v1, s7, v4
	s_wait_xcnt 0x0
	s_mul_i32 s0, s5, s12
	v_cmp_le_i32_e32 vcc_lo, s4, v0
	s_sub_co_i32 s1, s0, s6
	s_mov_b32 s4, 0
	s_add_co_i32 s1, s1, 1
	s_branch .LBB0_22
.LBB0_21:                               ;   in Loop: Header=BB0_22 Depth=1
	s_or_b32 exec_lo, exec_lo, s5
	s_add_co_i32 s4, s4, 1
	s_wait_storecnt_dscnt 0x0
	s_cmp_lg_u32 s6, s4
	s_barrier_signal -1
	s_barrier_wait -1
	s_cbranch_scc0 .LBB0_27
.LBB0_22:                               ; =>This Inner Loop Header: Depth=1
	s_mov_b32 s5, exec_lo
	v_cmpx_lt_u32_e64 s4, v0
	s_cbranch_execz .LBB0_21
; %bb.23:                               ;   in Loop: Header=BB0_22 Depth=1
	ds_load_b32 v7, v2
	ds_load_2addr_b32 v[4:5], v1 offset1:1
	ds_load_2addr_b32 v[8:9], v3 offset1:1
	ds_load_b32 v10, v1 offset:16
	s_wait_dscnt 0x1
	v_fma_f32 v4, v7, v4, v8
	s_wait_dscnt 0x0
	s_delay_alu instid0(VALU_DEP_1) | instskip(NEXT) | instid1(VALU_DEP_1)
	v_mul_f32_e32 v8, v4, v10
	v_fma_f32 v5, v7, v5, -v8
	s_delay_alu instid0(VALU_DEP_1)
	v_add_f32_e32 v5, v9, v5
	ds_store_b32 v3, v5
	ds_load_b32 v5, v1 offset:20
	ds_load_b32 v8, v1 offset:8
	s_wait_dscnt 0x1
	v_mul_f32_e32 v5, v4, v5
	s_wait_dscnt 0x0
	s_delay_alu instid0(VALU_DEP_1) | instskip(SKIP_2) | instid1(SALU_CYCLE_1)
	v_fma_f32 v5, v7, v8, -v5
	ds_store_b32 v3, v5 offset:4
	s_and_saveexec_b32 s0, vcc_lo
	s_xor_b32 s0, exec_lo, s0
	s_cbranch_execz .LBB0_25
; %bb.24:                               ;   in Loop: Header=BB0_22 Depth=1
	s_add_co_i32 s7, s1, s4
	s_delay_alu instid0(SALU_CYCLE_1)
	v_mov_b32_e32 v5, s7
	s_wait_kmcnt 0x0
	global_store_b32 v5, v4, s[2:3] scale_offset
                                        ; implicit-def: $vgpr4
.LBB0_25:                               ;   in Loop: Header=BB0_22 Depth=1
	s_wait_xcnt 0x0
	s_and_not1_saveexec_b32 s0, s0
	s_cbranch_execz .LBB0_21
; %bb.26:                               ;   in Loop: Header=BB0_22 Depth=1
	ds_store_b32 v6, v4
	s_branch .LBB0_21
.LBB0_27:
	s_endpgm
	.section	.rodata,"a",@progbits
	.p2align	6, 0x0
	.amdhsa_kernel _Z7sosfiltIfEviiiiPKT_S2_PS0_
		.amdhsa_group_segment_fixed_size 0
		.amdhsa_private_segment_fixed_size 0
		.amdhsa_kernarg_size 40
		.amdhsa_user_sgpr_count 2
		.amdhsa_user_sgpr_dispatch_ptr 0
		.amdhsa_user_sgpr_queue_ptr 0
		.amdhsa_user_sgpr_kernarg_segment_ptr 1
		.amdhsa_user_sgpr_dispatch_id 0
		.amdhsa_user_sgpr_kernarg_preload_length 0
		.amdhsa_user_sgpr_kernarg_preload_offset 0
		.amdhsa_user_sgpr_private_segment_size 0
		.amdhsa_wavefront_size32 1
		.amdhsa_uses_dynamic_stack 0
		.amdhsa_enable_private_segment 0
		.amdhsa_system_sgpr_workgroup_id_x 1
		.amdhsa_system_sgpr_workgroup_id_y 0
		.amdhsa_system_sgpr_workgroup_id_z 0
		.amdhsa_system_sgpr_workgroup_info 0
		.amdhsa_system_vgpr_workitem_id 0
		.amdhsa_next_free_vgpr 14
		.amdhsa_next_free_sgpr 14
		.amdhsa_named_barrier_count 0
		.amdhsa_reserve_vcc 1
		.amdhsa_float_round_mode_32 0
		.amdhsa_float_round_mode_16_64 0
		.amdhsa_float_denorm_mode_32 3
		.amdhsa_float_denorm_mode_16_64 3
		.amdhsa_fp16_overflow 0
		.amdhsa_memory_ordered 1
		.amdhsa_forward_progress 1
		.amdhsa_inst_pref_size 11
		.amdhsa_round_robin_scheduling 0
		.amdhsa_exception_fp_ieee_invalid_op 0
		.amdhsa_exception_fp_denorm_src 0
		.amdhsa_exception_fp_ieee_div_zero 0
		.amdhsa_exception_fp_ieee_overflow 0
		.amdhsa_exception_fp_ieee_underflow 0
		.amdhsa_exception_fp_ieee_inexact 0
		.amdhsa_exception_int_div_zero 0
	.end_amdhsa_kernel
	.section	.text._Z7sosfiltIfEviiiiPKT_S2_PS0_,"axG",@progbits,_Z7sosfiltIfEviiiiPKT_S2_PS0_,comdat
.Lfunc_end0:
	.size	_Z7sosfiltIfEviiiiPKT_S2_PS0_, .Lfunc_end0-_Z7sosfiltIfEviiiiPKT_S2_PS0_
                                        ; -- End function
	.set _Z7sosfiltIfEviiiiPKT_S2_PS0_.num_vgpr, 14
	.set _Z7sosfiltIfEviiiiPKT_S2_PS0_.num_agpr, 0
	.set _Z7sosfiltIfEviiiiPKT_S2_PS0_.numbered_sgpr, 14
	.set _Z7sosfiltIfEviiiiPKT_S2_PS0_.num_named_barrier, 0
	.set _Z7sosfiltIfEviiiiPKT_S2_PS0_.private_seg_size, 0
	.set _Z7sosfiltIfEviiiiPKT_S2_PS0_.uses_vcc, 1
	.set _Z7sosfiltIfEviiiiPKT_S2_PS0_.uses_flat_scratch, 0
	.set _Z7sosfiltIfEviiiiPKT_S2_PS0_.has_dyn_sized_stack, 0
	.set _Z7sosfiltIfEviiiiPKT_S2_PS0_.has_recursion, 0
	.set _Z7sosfiltIfEviiiiPKT_S2_PS0_.has_indirect_call, 0
	.section	.AMDGPU.csdata,"",@progbits
; Kernel info:
; codeLenInByte = 1380
; TotalNumSgprs: 16
; NumVgprs: 14
; ScratchSize: 0
; MemoryBound: 0
; FloatMode: 240
; IeeeMode: 1
; LDSByteSize: 0 bytes/workgroup (compile time only)
; SGPRBlocks: 0
; VGPRBlocks: 0
; NumSGPRsForWavesPerEU: 16
; NumVGPRsForWavesPerEU: 14
; NamedBarCnt: 0
; Occupancy: 16
; WaveLimiterHint : 0
; COMPUTE_PGM_RSRC2:SCRATCH_EN: 0
; COMPUTE_PGM_RSRC2:USER_SGPR: 2
; COMPUTE_PGM_RSRC2:TRAP_HANDLER: 0
; COMPUTE_PGM_RSRC2:TGID_X_EN: 1
; COMPUTE_PGM_RSRC2:TGID_Y_EN: 0
; COMPUTE_PGM_RSRC2:TGID_Z_EN: 0
; COMPUTE_PGM_RSRC2:TIDIG_COMP_CNT: 0
	.section	.text._Z7sosfiltIdEviiiiPKT_S2_PS0_,"axG",@progbits,_Z7sosfiltIdEviiiiPKT_S2_PS0_,comdat
	.protected	_Z7sosfiltIdEviiiiPKT_S2_PS0_ ; -- Begin function _Z7sosfiltIdEviiiiPKT_S2_PS0_
	.globl	_Z7sosfiltIdEviiiiPKT_S2_PS0_
	.p2align	8
	.type	_Z7sosfiltIdEviiiiPKT_S2_PS0_,@function
_Z7sosfiltIdEviiiiPKT_S2_PS0_:          ; @_Z7sosfiltIdEviiiiPKT_S2_PS0_
; %bb.0:
	s_clause 0x1
	s_load_b128 s[4:7], s[0:1], 0x0
	s_load_b64 s[2:3], s[0:1], 0x10
	s_bfe_u32 s8, ttmp6, 0x4000c
	s_and_b32 s10, ttmp6, 15
	s_add_co_i32 s8, s8, 1
	v_mov_b64_e32 v[2:3], 0
	s_mul_i32 s8, ttmp9, s8
	v_lshl_add_u32 v7, v0, 3, 0
	s_add_co_i32 s10, s10, s8
	s_getreg_b32 s8, hwreg(HW_REG_IB_STS2, 6, 4)
	ds_store_b64 v7, v[2:3]
	s_wait_kmcnt 0x0
	v_mul_lo_u32 v1, s7, v0
	s_lshl_b32 s9, s6, 3
	s_delay_alu instid0(SALU_CYCLE_1) | instskip(SKIP_3) | instid1(VALU_DEP_1)
	s_add_co_i32 s9, s9, 0
	s_cmp_eq_u32 s8, 0
	s_cselect_b32 s8, ttmp9, s10
	s_cmp_lt_i32 s7, 1
	v_lshl_add_u32 v8, v1, 3, s9
	s_cbranch_scc1 .LBB1_3
; %bb.1:
	v_mad_u32 v1, s6, s8, v0
	s_load_b64 s[10:11], s[0:1], 0x18
	s_delay_alu instid0(VALU_DEP_1) | instskip(NEXT) | instid1(VALU_DEP_1)
	v_mul_lo_u32 v2, v1, s7
	v_dual_mov_b32 v1, v8 :: v_dual_ashrrev_i32 v3, 31, v2
	s_wait_kmcnt 0x0
	s_delay_alu instid0(VALU_DEP_1)
	v_lshl_add_u64 v[2:3], v[2:3], 3, s[10:11]
	s_mov_b32 s10, s7
.LBB1_2:                                ; =>This Inner Loop Header: Depth=1
	global_load_b64 v[4:5], v[2:3], off
	s_wait_xcnt 0x0
	v_add_nc_u64_e32 v[2:3], 8, v[2:3]
	s_add_co_i32 s10, s10, -1
	s_delay_alu instid0(SALU_CYCLE_1)
	s_cmp_eq_u32 s10, 0
	s_wait_loadcnt 0x0
	ds_store_b64 v1, v[4:5]
	v_add_nc_u32_e32 v1, 8, v1
	s_cbranch_scc0 .LBB1_2
.LBB1_3:
	v_mul_u32_u24_e32 v1, 6, v0
	s_delay_alu instid0(VALU_DEP_1)
	v_lshlrev_b32_e32 v1, 3, v1
	s_clause 0x2
	global_load_b128 v[2:5], v1, s[2:3]
	global_load_b128 v[10:13], v1, s[2:3] offset:16
	global_load_b128 v[14:17], v1, s[2:3] offset:32
	s_wait_xcnt 0x0
	s_mul_i32 s2, s7, s6
	s_delay_alu instid0(SALU_CYCLE_1) | instskip(NEXT) | instid1(SALU_CYCLE_1)
	s_lshl_b32 s2, s2, 3
	s_add_co_i32 s7, s9, s2
	s_cmp_lt_i32 s8, s4
	v_add_nc_u32_e32 v1, s7, v1
	s_wait_loadcnt 0x2
	ds_store_2addr_b64 v1, v[2:3], v[4:5] offset1:1
	s_wait_loadcnt 0x1
	ds_store_2addr_b64 v1, v[10:11], v[12:13] offset0:2 offset1:3
	s_wait_loadcnt 0x0
	ds_store_2addr_b64 v1, v[14:15], v[16:17] offset0:4 offset1:5
	s_wait_dscnt 0x0
	s_barrier_signal -1
	s_barrier_wait -1
	s_cbranch_scc0 .LBB1_22
; %bb.4:
	s_load_b64 s[2:3], s[0:1], 0x20
	v_add_nc_u32_e32 v6, -8, v7
	v_mul_u32_u24_e32 v9, 48, v0
	s_add_co_i32 s4, s6, -1
	s_cmp_lt_i32 s6, 2
	s_cbranch_scc1 .LBB1_7
; %bb.5:
	s_wait_xcnt 0x0
	s_mov_b64 s[0:1], src_shared_base
	s_mul_i32 s0, s5, s8
	v_dual_mov_b32 v1, s1 :: v_dual_add_nc_u32 v2, s7, v9
	s_mov_b32 s9, s4
	v_cmp_eq_u32_e32 vcc_lo, 0, v0
.LBB1_6:                                ; =>This Inner Loop Header: Depth=1
	s_ashr_i32 s1, s0, 31
	s_add_co_i32 s9, s9, -1
	s_lshl_b64 s[10:11], s[0:1], 3
	s_add_co_i32 s0, s0, 1
	s_wait_kmcnt 0x0
	s_add_nc_u64 s[10:11], s[2:3], s[10:11]
	s_cmp_eq_u32 s9, 0
	v_cndmask_b32_e64 v5, v1, s11, vcc_lo
	v_cndmask_b32_e64 v4, v6, s10, vcc_lo
	flat_load_b64 v[4:5], v[4:5]
	ds_load_2addr_b64 v[10:13], v8 offset1:1
	ds_load_2addr_b64 v[14:17], v2 offset1:1
	ds_load_b64 v[18:19], v2 offset:32
	s_wait_loadcnt_dscnt 0x1
	v_fmac_f64_e32 v[10:11], v[4:5], v[14:15]
	s_wait_dscnt 0x0
	s_delay_alu instid0(VALU_DEP_1) | instskip(NEXT) | instid1(VALU_DEP_1)
	v_mul_f64_e32 v[14:15], v[10:11], v[18:19]
	v_fma_f64 v[14:15], v[4:5], v[16:17], -v[14:15]
	s_delay_alu instid0(VALU_DEP_1)
	v_add_f64_e32 v[12:13], v[12:13], v[14:15]
	ds_store_b64 v8, v[12:13]
	ds_load_b64 v[12:13], v2 offset:40
	ds_load_b64 v[14:15], v2 offset:16
	s_wait_dscnt 0x1
	v_mul_f64_e32 v[12:13], v[10:11], v[12:13]
	s_wait_dscnt 0x0
	s_delay_alu instid0(VALU_DEP_1)
	v_fma_f64 v[4:5], v[4:5], v[14:15], -v[12:13]
	ds_store_b64 v8, v[4:5] offset:8
	ds_store_b64 v7, v[10:11]
	s_wait_dscnt 0x0
	s_barrier_signal -1
	s_barrier_wait -1
	s_cbranch_scc0 .LBB1_6
.LBB1_7:
	s_cmp_gt_i32 s6, s5
	v_cmp_le_i32_e32 vcc_lo, s4, v0
	s_cbranch_scc1 .LBB1_14
; %bb.8:
	s_wait_xcnt 0x0
	s_mov_b64 s[0:1], src_shared_base
	v_cmp_eq_u32_e64 s0, 0, v0
	v_dual_mov_b32 v1, s1 :: v_dual_add_nc_u32 v10, s7, v9
	s_mul_i32 s1, s5, s8
	s_mov_b32 s9, 0
	s_add_co_i32 s10, s1, s4
	s_branch .LBB1_10
.LBB1_9:                                ;   in Loop: Header=BB1_10 Depth=1
	s_or_b32 exec_lo, exec_lo, s11
	s_add_co_i32 s9, s9, 1
	s_wait_storecnt_dscnt 0x0
	s_add_co_i32 s11, s4, s9
	s_barrier_signal -1
	s_cmp_ge_i32 s11, s5
	s_barrier_wait -1
	s_cbranch_scc1 .LBB1_14
.LBB1_10:                               ; =>This Inner Loop Header: Depth=1
	s_add_co_i32 s12, s10, s9
	s_delay_alu instid0(SALU_CYCLE_1) | instskip(NEXT) | instid1(SALU_CYCLE_1)
	s_ashr_i32 s13, s12, 31
	s_lshl_b64 s[12:13], s[12:13], 3
	s_wait_kmcnt 0x0
	s_add_nc_u64 s[12:13], s[2:3], s[12:13]
	s_delay_alu instid0(SALU_CYCLE_1)
	v_cndmask_b32_e64 v3, v1, s13, s0
	v_cndmask_b32_e64 v2, v6, s12, s0
	flat_load_b64 v[16:17], v[2:3]
	s_wait_xcnt 0x0
	ds_load_2addr_b64 v[2:5], v8 offset1:1
	ds_load_2addr_b64 v[12:15], v10 offset1:1
	ds_load_b64 v[18:19], v10 offset:32
	s_wait_loadcnt_dscnt 0x1
	v_fmac_f64_e32 v[2:3], v[16:17], v[12:13]
	s_wait_dscnt 0x0
	s_delay_alu instid0(VALU_DEP_1) | instskip(NEXT) | instid1(VALU_DEP_1)
	v_mul_f64_e32 v[12:13], v[2:3], v[18:19]
	v_fma_f64 v[12:13], v[16:17], v[14:15], -v[12:13]
	s_delay_alu instid0(VALU_DEP_1)
	v_add_f64_e32 v[4:5], v[4:5], v[12:13]
	ds_store_b64 v8, v[4:5]
	ds_load_b64 v[4:5], v10 offset:40
	ds_load_b64 v[12:13], v10 offset:16
	s_wait_dscnt 0x1
	v_mul_f64_e32 v[4:5], v[2:3], v[4:5]
	s_wait_dscnt 0x0
	s_delay_alu instid0(VALU_DEP_1) | instskip(SKIP_2) | instid1(SALU_CYCLE_1)
	v_fma_f64 v[4:5], v[16:17], v[12:13], -v[4:5]
	ds_store_b64 v8, v[4:5] offset:8
	s_and_saveexec_b32 s11, vcc_lo
	s_xor_b32 s11, exec_lo, s11
	s_cbranch_execz .LBB1_12
; %bb.11:                               ;   in Loop: Header=BB1_10 Depth=1
	s_add_co_i32 s12, s1, s9
	s_delay_alu instid0(SALU_CYCLE_1)
	v_mov_b32_e32 v4, s12
	global_store_b64 v4, v[2:3], s[2:3] scale_offset
                                        ; implicit-def: $vgpr2_vgpr3
.LBB1_12:                               ;   in Loop: Header=BB1_10 Depth=1
	s_wait_xcnt 0x0
	s_and_not1_saveexec_b32 s11, s11
	s_cbranch_execz .LBB1_9
; %bb.13:                               ;   in Loop: Header=BB1_10 Depth=1
	ds_store_b64 v7, v[2:3]
	s_branch .LBB1_9
.LBB1_14:
	s_cmp_lt_i32 s6, 1
	s_cbranch_scc1 .LBB1_22
; %bb.15:
	s_add_co_i32 s8, s8, 1
	v_add_nc_u32_e32 v1, s7, v9
	s_wait_xcnt 0x0
	s_mul_i32 s0, s5, s8
	v_cmp_le_i32_e32 vcc_lo, s4, v0
	s_sub_co_i32 s1, s0, s6
	s_mov_b32 s4, 0
	s_add_co_i32 s1, s1, 1
	s_branch .LBB1_17
.LBB1_16:                               ;   in Loop: Header=BB1_17 Depth=1
	s_or_b32 exec_lo, exec_lo, s5
	s_add_co_i32 s4, s4, 1
	s_wait_storecnt_dscnt 0x0
	s_cmp_lg_u32 s6, s4
	s_barrier_signal -1
	s_barrier_wait -1
	s_cbranch_scc0 .LBB1_22
.LBB1_17:                               ; =>This Inner Loop Header: Depth=1
	s_mov_b32 s5, exec_lo
	v_cmpx_lt_u32_e64 s4, v0
	s_cbranch_execz .LBB1_16
; %bb.18:                               ;   in Loop: Header=BB1_17 Depth=1
	ds_load_b64 v[14:15], v6
	ds_load_2addr_b64 v[2:5], v8 offset1:1
	ds_load_2addr_b64 v[10:13], v1 offset1:1
	ds_load_b64 v[16:17], v1 offset:32
	s_wait_dscnt 0x1
	v_fmac_f64_e32 v[2:3], v[14:15], v[10:11]
	s_wait_dscnt 0x0
	s_delay_alu instid0(VALU_DEP_1) | instskip(NEXT) | instid1(VALU_DEP_1)
	v_mul_f64_e32 v[10:11], v[2:3], v[16:17]
	v_fma_f64 v[10:11], v[14:15], v[12:13], -v[10:11]
	s_delay_alu instid0(VALU_DEP_1)
	v_add_f64_e32 v[4:5], v[4:5], v[10:11]
	ds_store_b64 v8, v[4:5]
	ds_load_b64 v[4:5], v1 offset:40
	ds_load_b64 v[10:11], v1 offset:16
	s_wait_dscnt 0x1
	v_mul_f64_e32 v[4:5], v[2:3], v[4:5]
	s_wait_dscnt 0x0
	s_delay_alu instid0(VALU_DEP_1) | instskip(SKIP_2) | instid1(SALU_CYCLE_1)
	v_fma_f64 v[4:5], v[14:15], v[10:11], -v[4:5]
	ds_store_b64 v8, v[4:5] offset:8
	s_and_saveexec_b32 s0, vcc_lo
	s_xor_b32 s0, exec_lo, s0
	s_cbranch_execz .LBB1_20
; %bb.19:                               ;   in Loop: Header=BB1_17 Depth=1
	s_add_co_i32 s7, s1, s4
	s_delay_alu instid0(SALU_CYCLE_1)
	v_mov_b32_e32 v4, s7
	s_wait_kmcnt 0x0
	global_store_b64 v4, v[2:3], s[2:3] scale_offset
                                        ; implicit-def: $vgpr2_vgpr3
.LBB1_20:                               ;   in Loop: Header=BB1_17 Depth=1
	s_wait_xcnt 0x0
	s_and_not1_saveexec_b32 s0, s0
	s_cbranch_execz .LBB1_16
; %bb.21:                               ;   in Loop: Header=BB1_17 Depth=1
	ds_store_b64 v7, v[2:3]
	s_branch .LBB1_16
.LBB1_22:
	s_endpgm
	.section	.rodata,"a",@progbits
	.p2align	6, 0x0
	.amdhsa_kernel _Z7sosfiltIdEviiiiPKT_S2_PS0_
		.amdhsa_group_segment_fixed_size 0
		.amdhsa_private_segment_fixed_size 0
		.amdhsa_kernarg_size 40
		.amdhsa_user_sgpr_count 2
		.amdhsa_user_sgpr_dispatch_ptr 0
		.amdhsa_user_sgpr_queue_ptr 0
		.amdhsa_user_sgpr_kernarg_segment_ptr 1
		.amdhsa_user_sgpr_dispatch_id 0
		.amdhsa_user_sgpr_kernarg_preload_length 0
		.amdhsa_user_sgpr_kernarg_preload_offset 0
		.amdhsa_user_sgpr_private_segment_size 0
		.amdhsa_wavefront_size32 1
		.amdhsa_uses_dynamic_stack 0
		.amdhsa_enable_private_segment 0
		.amdhsa_system_sgpr_workgroup_id_x 1
		.amdhsa_system_sgpr_workgroup_id_y 0
		.amdhsa_system_sgpr_workgroup_id_z 0
		.amdhsa_system_sgpr_workgroup_info 0
		.amdhsa_system_vgpr_workitem_id 0
		.amdhsa_next_free_vgpr 20
		.amdhsa_next_free_sgpr 14
		.amdhsa_named_barrier_count 0
		.amdhsa_reserve_vcc 1
		.amdhsa_float_round_mode_32 0
		.amdhsa_float_round_mode_16_64 0
		.amdhsa_float_denorm_mode_32 3
		.amdhsa_float_denorm_mode_16_64 3
		.amdhsa_fp16_overflow 0
		.amdhsa_memory_ordered 1
		.amdhsa_forward_progress 1
		.amdhsa_inst_pref_size 10
		.amdhsa_round_robin_scheduling 0
		.amdhsa_exception_fp_ieee_invalid_op 0
		.amdhsa_exception_fp_denorm_src 0
		.amdhsa_exception_fp_ieee_div_zero 0
		.amdhsa_exception_fp_ieee_overflow 0
		.amdhsa_exception_fp_ieee_underflow 0
		.amdhsa_exception_fp_ieee_inexact 0
		.amdhsa_exception_int_div_zero 0
	.end_amdhsa_kernel
	.section	.text._Z7sosfiltIdEviiiiPKT_S2_PS0_,"axG",@progbits,_Z7sosfiltIdEviiiiPKT_S2_PS0_,comdat
.Lfunc_end1:
	.size	_Z7sosfiltIdEviiiiPKT_S2_PS0_, .Lfunc_end1-_Z7sosfiltIdEviiiiPKT_S2_PS0_
                                        ; -- End function
	.set _Z7sosfiltIdEviiiiPKT_S2_PS0_.num_vgpr, 20
	.set _Z7sosfiltIdEviiiiPKT_S2_PS0_.num_agpr, 0
	.set _Z7sosfiltIdEviiiiPKT_S2_PS0_.numbered_sgpr, 14
	.set _Z7sosfiltIdEviiiiPKT_S2_PS0_.num_named_barrier, 0
	.set _Z7sosfiltIdEviiiiPKT_S2_PS0_.private_seg_size, 0
	.set _Z7sosfiltIdEviiiiPKT_S2_PS0_.uses_vcc, 1
	.set _Z7sosfiltIdEviiiiPKT_S2_PS0_.uses_flat_scratch, 0
	.set _Z7sosfiltIdEviiiiPKT_S2_PS0_.has_dyn_sized_stack, 0
	.set _Z7sosfiltIdEviiiiPKT_S2_PS0_.has_recursion, 0
	.set _Z7sosfiltIdEviiiiPKT_S2_PS0_.has_indirect_call, 0
	.section	.AMDGPU.csdata,"",@progbits
; Kernel info:
; codeLenInByte = 1212
; TotalNumSgprs: 16
; NumVgprs: 20
; ScratchSize: 0
; MemoryBound: 0
; FloatMode: 240
; IeeeMode: 1
; LDSByteSize: 0 bytes/workgroup (compile time only)
; SGPRBlocks: 0
; VGPRBlocks: 1
; NumSGPRsForWavesPerEU: 16
; NumVGPRsForWavesPerEU: 20
; NamedBarCnt: 0
; Occupancy: 16
; WaveLimiterHint : 0
; COMPUTE_PGM_RSRC2:SCRATCH_EN: 0
; COMPUTE_PGM_RSRC2:USER_SGPR: 2
; COMPUTE_PGM_RSRC2:TRAP_HANDLER: 0
; COMPUTE_PGM_RSRC2:TGID_X_EN: 1
; COMPUTE_PGM_RSRC2:TGID_Y_EN: 0
; COMPUTE_PGM_RSRC2:TGID_Z_EN: 0
; COMPUTE_PGM_RSRC2:TIDIG_COMP_CNT: 0
	.section	.AMDGPU.gpr_maximums,"",@progbits
	.set amdgpu.max_num_vgpr, 0
	.set amdgpu.max_num_agpr, 0
	.set amdgpu.max_num_sgpr, 0
	.section	.AMDGPU.csdata,"",@progbits
	.type	__hip_cuid_27dc5f58f9aeabbb,@object ; @__hip_cuid_27dc5f58f9aeabbb
	.section	.bss,"aw",@nobits
	.globl	__hip_cuid_27dc5f58f9aeabbb
__hip_cuid_27dc5f58f9aeabbb:
	.byte	0                               ; 0x0
	.size	__hip_cuid_27dc5f58f9aeabbb, 1

	.ident	"AMD clang version 22.0.0git (https://github.com/RadeonOpenCompute/llvm-project roc-7.2.4 26084 f58b06dce1f9c15707c5f808fd002e18c2accf7e)"
	.section	".note.GNU-stack","",@progbits
	.addrsig
	.addrsig_sym __hip_cuid_27dc5f58f9aeabbb
	.amdgpu_metadata
---
amdhsa.kernels:
  - .args:
      - .offset:         0
        .size:           4
        .value_kind:     by_value
      - .offset:         4
        .size:           4
        .value_kind:     by_value
      - .offset:         8
        .size:           4
        .value_kind:     by_value
      - .offset:         12
        .size:           4
        .value_kind:     by_value
      - .actual_access:  read_only
        .address_space:  global
        .offset:         16
        .size:           8
        .value_kind:     global_buffer
      - .actual_access:  read_only
        .address_space:  global
        .offset:         24
        .size:           8
        .value_kind:     global_buffer
      - .address_space:  global
        .offset:         32
        .size:           8
        .value_kind:     global_buffer
    .group_segment_fixed_size: 0
    .kernarg_segment_align: 8
    .kernarg_segment_size: 40
    .language:       OpenCL C
    .language_version:
      - 2
      - 0
    .max_flat_workgroup_size: 1024
    .name:           _Z7sosfiltIfEviiiiPKT_S2_PS0_
    .private_segment_fixed_size: 0
    .sgpr_count:     16
    .sgpr_spill_count: 0
    .symbol:         _Z7sosfiltIfEviiiiPKT_S2_PS0_.kd
    .uniform_work_group_size: 1
    .uses_dynamic_stack: false
    .vgpr_count:     14
    .vgpr_spill_count: 0
    .wavefront_size: 32
  - .args:
      - .offset:         0
        .size:           4
        .value_kind:     by_value
      - .offset:         4
        .size:           4
        .value_kind:     by_value
      - .offset:         8
        .size:           4
        .value_kind:     by_value
      - .offset:         12
        .size:           4
        .value_kind:     by_value
      - .actual_access:  read_only
        .address_space:  global
        .offset:         16
        .size:           8
        .value_kind:     global_buffer
      - .actual_access:  read_only
        .address_space:  global
        .offset:         24
        .size:           8
        .value_kind:     global_buffer
      - .address_space:  global
        .offset:         32
        .size:           8
        .value_kind:     global_buffer
    .group_segment_fixed_size: 0
    .kernarg_segment_align: 8
    .kernarg_segment_size: 40
    .language:       OpenCL C
    .language_version:
      - 2
      - 0
    .max_flat_workgroup_size: 1024
    .name:           _Z7sosfiltIdEviiiiPKT_S2_PS0_
    .private_segment_fixed_size: 0
    .sgpr_count:     16
    .sgpr_spill_count: 0
    .symbol:         _Z7sosfiltIdEviiiiPKT_S2_PS0_.kd
    .uniform_work_group_size: 1
    .uses_dynamic_stack: false
    .vgpr_count:     20
    .vgpr_spill_count: 0
    .wavefront_size: 32
amdhsa.target:   amdgcn-amd-amdhsa--gfx1250
amdhsa.version:
  - 1
  - 2
...

	.end_amdgpu_metadata
